;; amdgpu-corpus repo=zjin-lcf/HeCBench kind=compiled arch=gfx906 opt=O3
	.amdgcn_target "amdgcn-amd-amdhsa--gfx906"
	.amdhsa_code_object_version 6
	.text
	.protected	_Z11AIDW_KernelPKfS0_S0_iS0_S0_PfifS0_ ; -- Begin function _Z11AIDW_KernelPKfS0_S0_iS0_S0_PfifS0_
	.globl	_Z11AIDW_KernelPKfS0_S0_iS0_S0_PfifS0_
	.p2align	8
	.type	_Z11AIDW_KernelPKfS0_S0_iS0_S0_PfifS0_,@function
_Z11AIDW_KernelPKfS0_S0_iS0_S0_PfifS0_: ; @_Z11AIDW_KernelPKfS0_S0_iS0_S0_PfifS0_
; %bb.0:
	s_load_dword s2, s[4:5], 0x54
	s_load_dwordx2 s[0:1], s[4:5], 0x38
	s_waitcnt lgkmcnt(0)
	s_and_b32 s2, s2, 0xffff
	s_mul_i32 s6, s6, s2
	v_add_u32_e32 v0, s6, v0
	v_cmp_gt_i32_e32 vcc, s0, v0
	s_and_saveexec_b64 s[2:3], vcc
	s_cbranch_execz .LBB0_13
; %bb.1:
	s_load_dword s22, s[4:5], 0x18
	v_ashrrev_i32_e32 v1, 31, v0
	v_lshlrev_b64 v[0:1], 2, v[0:1]
	s_mov_b32 s0, 0xf800000
	s_waitcnt lgkmcnt(0)
	v_cvt_f32_i32_e32 v4, s22
	v_div_scale_f32 v2, s[2:3], s1, s1, v4
	v_div_scale_f32 v3, vcc, v4, s1, v4
	s_load_dwordx2 s[2:3], s[4:5], 0x40
	s_load_dwordx2 s[6:7], s[4:5], 0x30
	s_waitcnt lgkmcnt(0)
	v_mov_b32_e32 v6, s3
	v_rcp_f32_e32 v5, v2
	v_fma_f32 v7, -v2, v5, 1.0
	v_fmac_f32_e32 v5, v7, v5
	v_mul_f32_e32 v7, v3, v5
	v_fma_f32 v8, -v2, v7, v3
	v_fmac_f32_e32 v7, v8, v5
	v_fma_f32 v2, -v2, v7, v3
	v_div_fmas_f32 v5, v2, v5, v7
	v_add_co_u32_e32 v2, vcc, s2, v0
	v_addc_co_u32_e32 v3, vcc, v6, v1, vcc
	global_load_dword v2, v[2:3], off
	s_load_dwordx4 s[12:15], s[4:5], 0x20
	s_load_dwordx4 s[8:11], s[4:5], 0x0
	s_load_dwordx2 s[16:17], s[4:5], 0x10
	v_div_fixup_f32 v3, v5, s1, v4
	v_mul_f32_e32 v4, 0x4f800000, v3
	v_cmp_gt_f32_e32 vcc, s0, v3
	v_cndmask_b32_e32 v3, v3, v4, vcc
	v_sqrt_f32_e32 v4, v3
	v_mov_b32_e32 v5, 0x260
	v_add_u32_e32 v6, -1, v4
	v_add_u32_e32 v7, 1, v4
	v_fma_f32 v8, -v6, v4, v3
	v_fma_f32 v9, -v7, v4, v3
	v_cmp_ge_f32_e64 s[0:1], 0, v8
	v_cndmask_b32_e64 v4, v4, v6, s[0:1]
	v_cmp_lt_f32_e64 s[0:1], 0, v9
	v_cndmask_b32_e64 v4, v4, v7, s[0:1]
	v_mul_f32_e32 v6, 0x37800000, v4
	v_cndmask_b32_e32 v4, v4, v6, vcc
	v_cmp_class_f32_e32 vcc, v3, v5
	v_cndmask_b32_e32 v3, v4, v3, vcc
	v_div_scale_f32 v4, s[0:1], v3, v3, 0.5
	v_div_scale_f32 v5, vcc, 0.5, v3, 0.5
	v_rcp_f32_e32 v6, v4
	v_fma_f32 v7, -v4, v6, 1.0
	v_fmac_f32_e32 v6, v7, v6
	v_mul_f32_e32 v7, v5, v6
	v_fma_f32 v8, -v4, v7, v5
	v_fmac_f32_e32 v7, v8, v6
	v_fma_f32 v4, -v4, v7, v5
	v_div_fmas_f32 v4, v4, v6, v7
	v_div_fixup_f32 v3, v4, v3, 0.5
	s_waitcnt vmcnt(0)
	v_div_scale_f32 v4, s[0:1], v3, v3, v2
	v_div_scale_f32 v5, vcc, v2, v3, v2
	v_rcp_f32_e32 v6, v4
	v_fma_f32 v7, -v4, v6, 1.0
	v_fmac_f32_e32 v6, v7, v6
	v_mul_f32_e32 v7, v5, v6
	v_fma_f32 v8, -v4, v7, v5
	v_fmac_f32_e32 v7, v8, v6
	v_fma_f32 v4, -v4, v7, v5
	v_div_fmas_f32 v4, v4, v6, v7
	v_mov_b32_e32 v5, 0
	v_div_fixup_f32 v2, v4, v3, v2
	v_cmp_le_f32_e32 vcc, 0, v2
	s_and_saveexec_b64 s[18:19], vcc
	s_cbranch_execz .LBB0_7
; %bb.2:
	v_mul_f32_e32 v3, 0x3fc90fda, v2
	s_brev_b32 s0, 18
	s_mov_b32 s23, 0x3fc90fda
	v_cmp_nlt_f32_e64 s[0:1], |v3|, s0
                                        ; implicit-def: $vgpr4
                                        ; implicit-def: $vgpr5
	s_and_saveexec_b64 s[2:3], s[0:1]
	s_xor_b64 s[20:21], exec, s[2:3]
	s_cbranch_execz .LBB0_4
; %bb.3:
	v_and_b32_e32 v11, 0x7fffffff, v3
	v_and_b32_e32 v4, 0x7fffff, v11
	v_or_b32_e32 v13, 0x800000, v4
	s_mov_b32 s0, 0xfe5163ab
	v_mad_u64_u32 v[4:5], s[0:1], v13, s0, 0
	v_mov_b32_e32 v6, 0
	s_mov_b32 s0, 0x3c439041
	v_mad_u64_u32 v[7:8], s[0:1], v13, s0, v[5:6]
	s_mov_b32 s0, 0xdb629599
	v_not_b32_e32 v12, 63
	v_mov_b32_e32 v5, v8
	v_mad_u64_u32 v[8:9], s[0:1], v13, s0, v[5:6]
	s_mov_b32 s0, 0xf534ddc0
	v_not_b32_e32 v15, 31
	v_mov_b32_e32 v5, v9
	v_mad_u64_u32 v[9:10], s[0:1], v13, s0, v[5:6]
	v_lshrrev_b32_e32 v5, 23, v11
	v_add_u32_e32 v14, 0xffffff88, v5
	v_mov_b32_e32 v5, v10
	s_mov_b32 s0, 0xfc2757d1
	v_mad_u64_u32 v[10:11], s[0:1], v13, s0, v[5:6]
	v_cmp_lt_u32_e32 vcc, 63, v14
	v_cndmask_b32_e32 v5, 0, v12, vcc
	v_add_u32_e32 v14, v5, v14
	v_mov_b32_e32 v5, v11
	s_mov_b32 s0, 0x4e441529
	v_mad_u64_u32 v[11:12], s[0:1], v13, s0, v[5:6]
	v_cmp_lt_u32_e64 s[0:1], 31, v14
	v_cndmask_b32_e64 v5, 0, v15, s[0:1]
	v_add_u32_e32 v14, v5, v14
	v_mov_b32_e32 v5, v12
	s_mov_b32 s2, 0xa2f9836e
	v_mad_u64_u32 v[5:6], s[2:3], v13, s2, v[5:6]
	v_cmp_lt_u32_e64 s[2:3], 31, v14
	v_cndmask_b32_e64 v12, 0, v15, s[2:3]
	v_cndmask_b32_e32 v13, v11, v9, vcc
	v_cndmask_b32_e32 v5, v5, v10, vcc
	;; [unrolled: 1-line block ×3, first 2 shown]
	v_add_u32_e32 v12, v12, v14
	v_cndmask_b32_e64 v14, v5, v13, s[0:1]
	v_cndmask_b32_e64 v5, v6, v5, s[0:1]
	v_cndmask_b32_e32 v6, v10, v8, vcc
	v_cndmask_b32_e64 v10, v13, v6, s[0:1]
	v_cndmask_b32_e64 v5, v5, v14, s[2:3]
	;; [unrolled: 1-line block ×3, first 2 shown]
	v_sub_u32_e32 v13, 32, v12
	v_alignbit_b32 v14, v5, v11, v13
	v_cmp_eq_u32_e64 s[4:5], 0, v12
	v_cndmask_b32_e64 v12, v14, v5, s[4:5]
	v_cndmask_b32_e32 v5, v9, v7, vcc
	v_cndmask_b32_e64 v6, v6, v5, s[0:1]
	v_cndmask_b32_e64 v7, v10, v6, s[2:3]
	v_alignbit_b32 v9, v11, v7, v13
	v_cndmask_b32_e32 v4, v8, v4, vcc
	v_cndmask_b32_e64 v9, v9, v11, s[4:5]
	v_bfe_u32 v14, v12, 29, 1
	v_cndmask_b32_e64 v4, v5, v4, s[0:1]
	v_alignbit_b32 v10, v12, v9, 30
	v_sub_u32_e32 v15, 0, v14
	v_cndmask_b32_e64 v4, v6, v4, s[2:3]
	v_xor_b32_e32 v10, v10, v15
	v_alignbit_b32 v5, v7, v4, v13
	v_cndmask_b32_e64 v5, v5, v7, s[4:5]
	v_ffbh_u32_e32 v7, v10
	v_alignbit_b32 v6, v9, v5, 30
	v_min_u32_e32 v7, 32, v7
	v_alignbit_b32 v4, v5, v4, 30
	v_xor_b32_e32 v6, v6, v15
	v_sub_u32_e32 v8, 31, v7
	v_xor_b32_e32 v4, v4, v15
	v_alignbit_b32 v9, v10, v6, v8
	v_alignbit_b32 v4, v6, v4, v8
	;; [unrolled: 1-line block ×3, first 2 shown]
	v_ffbh_u32_e32 v6, v5
	v_min_u32_e32 v6, 32, v6
	v_lshrrev_b32_e32 v11, 29, v12
	v_not_b32_e32 v8, v6
	v_alignbit_b32 v4, v5, v4, v8
	v_lshlrev_b32_e32 v5, 31, v11
	v_or_b32_e32 v8, 0x33000000, v5
	v_add_lshl_u32 v6, v6, v7, 23
	v_lshrrev_b32_e32 v4, 9, v4
	v_sub_u32_e32 v6, v8, v6
	v_or_b32_e32 v5, 0.5, v5
	v_lshlrev_b32_e32 v7, 23, v7
	v_or_b32_e32 v4, v6, v4
	v_lshrrev_b32_e32 v6, 9, v9
	v_sub_u32_e32 v5, v5, v7
	v_or_b32_e32 v5, v6, v5
	v_mul_f32_e32 v6, 0x3fc90fda, v5
	v_fma_f32 v7, v5, s23, -v6
	v_fmac_f32_e32 v7, 0x33a22168, v5
	v_fmac_f32_e32 v7, 0x3fc90fda, v4
	v_lshrrev_b32_e32 v4, 30, v12
	v_add_f32_e32 v5, v6, v7
	v_add_u32_e32 v4, v14, v4
.LBB0_4:
	s_andn2_saveexec_b64 s[0:1], s[20:21]
	s_cbranch_execz .LBB0_6
; %bb.5:
	s_mov_b32 s2, 0x3f22f983
	v_mul_f32_e64 v4, |v3|, s2
	v_rndne_f32_e32 v6, v4
	s_mov_b32 s2, 0xbfc90fda
	v_cvt_i32_f32_e32 v4, v6
	v_fma_f32 v5, v6, s2, |v3|
	v_fmac_f32_e32 v5, 0xb3a22168, v6
	v_fmac_f32_e32 v5, 0xa7c234c4, v6
.LBB0_6:
	s_or_b64 exec, exec, s[0:1]
	v_mul_f32_e32 v6, v5, v5
	v_mov_b32_e32 v7, 0x3c0881c4
	v_fmac_f32_e32 v7, 0xb94c1982, v6
	v_mov_b32_e32 v8, 0xbe2aaa9d
	v_fmac_f32_e32 v8, v6, v7
	v_mul_f32_e32 v7, v6, v8
	v_fmac_f32_e32 v5, v5, v7
	v_mov_b32_e32 v7, 0xbab64f3b
	v_fmac_f32_e32 v7, 0x37d75334, v6
	v_mov_b32_e32 v8, 0x3d2aabf7
	;; [unrolled: 2-line block ×3, first 2 shown]
	v_fmac_f32_e32 v7, v6, v8
	v_fma_f32 v6, v6, v7, 1.0
	v_and_b32_e32 v7, 1, v4
	v_cmp_eq_u32_e32 vcc, 0, v7
	v_lshlrev_b32_e32 v4, 30, v4
	v_cndmask_b32_e64 v5, -v5, v6, vcc
	v_and_b32_e32 v4, 0x80000000, v4
	v_xor_b32_e32 v4, v4, v5
	s_movk_i32 s0, 0x1f8
	v_fma_f32 v4, v4, -0.5, 0.5
	v_mov_b32_e32 v5, 0x7fc00000
	v_cmp_class_f32_e64 vcc, v3, s0
	v_cndmask_b32_e32 v5, v5, v4, vcc
.LBB0_7:
	s_or_b64 exec, exec, s[18:19]
	s_cmp_lt_i32 s22, 1
	s_cbranch_scc1 .LBB0_11
; %bb.8:
	s_waitcnt lgkmcnt(0)
	v_mov_b32_e32 v4, s13
	v_add_co_u32_e32 v3, vcc, s12, v0
	v_addc_co_u32_e32 v4, vcc, v4, v1, vcc
	global_load_dword v3, v[3:4], off
	v_mov_b32_e32 v4, s15
	v_add_co_u32_e32 v6, vcc, s14, v0
	v_addc_co_u32_e32 v7, vcc, v4, v1, vcc
	global_load_dword v4, v[6:7], off
	v_cmp_nle_f32_e32 vcc, 2.0, v2
	v_cndmask_b32_e32 v5, 1.0, v5, vcc
	s_mov_b32 s2, 0x3dcccccd
	v_cmp_le_f32_e32 vcc, 0, v5
	v_cmp_ge_f32_e64 s[0:1], s2, v5
	v_mov_b32_e32 v6, 0x3fc00000
	s_and_b64 vcc, vcc, s[0:1]
	v_add_f32_e32 v7, 0xbdcccccd, v5
	s_mov_b32 s3, 0xc0a00000
	v_cndmask_b32_e32 v6, 1.0, v6, vcc
	v_cmp_lt_f32_e32 vcc, s2, v5
	s_mov_b32 s2, 0x3e99999a
	v_fma_f32 v8, v7, s3, 1.0
	v_cmp_ge_f32_e64 s[0:1], s2, v5
	v_mul_f32_e32 v8, 0x3fc00000, v8
	v_fmac_f32_e32 v8, 0x41200000, v7
	s_and_b64 vcc, vcc, s[0:1]
	v_add_f32_e32 v7, 0xbe99999a, v5
	v_cndmask_b32_e32 v6, v6, v8, vcc
	v_fma_f32 v8, v7, s3, 1.0
	v_cmp_lt_f32_e32 vcc, s2, v5
	v_cmp_ge_f32_e64 s[0:1], 0.5, v5
	v_mul_f32_e32 v8, 0x3fc00000, v8
	v_fmac_f32_e32 v8, 0x41480000, v7
	s_and_b64 vcc, vcc, s[0:1]
	v_add_f32_e32 v7, -0.5, v5
	v_cndmask_b32_e32 v6, v6, v8, vcc
	s_mov_b32 s2, 0x3f333333
	v_fma_f32 v8, v7, s3, 1.0
	v_cmp_lt_f32_e32 vcc, 0.5, v5
	v_cmp_ge_f32_e64 s[0:1], s2, v5
	v_mul_f32_e32 v8, 0x40200000, v8
	v_fmac_f32_e32 v8, 0x41700000, v7
	s_and_b64 vcc, vcc, s[0:1]
	v_add_f32_e32 v7, 0xbf333333, v5
	v_cndmask_b32_e32 v6, v6, v8, vcc
	v_cmp_lt_f32_e32 vcc, s2, v5
	s_mov_b32 s2, 0x3f666666
	v_fma_f32 v8, v7, s3, 1.0
	v_cmp_ge_f32_e64 s[0:1], s2, v5
	v_mul_f32_e32 v8, 0x40400000, v8
	v_fmac_f32_e32 v8, 0x418c0000, v7
	s_and_b64 vcc, vcc, s[0:1]
	v_cndmask_b32_e32 v6, v6, v8, vcc
	v_cmp_lt_f32_e32 vcc, s2, v5
	v_cmp_ge_f32_e64 s[0:1], 1.0, v5
	v_mul_f32_e32 v5, 0.5, v6
	v_mov_b32_e32 v6, 0x3fe00000
	s_and_b64 vcc, vcc, s[0:1]
	v_mov_b32_e32 v2, 0
	v_cndmask_b32_e32 v5, v5, v6, vcc
	s_mov_b32 s12, 0x3f2aaaab
	v_mov_b32_e32 v7, 0x3ecccdef
	s_mov_b32 s13, 0x3f317218
	s_movk_i32 s14, 0x204
	s_mov_b32 s15, 0x7f800000
	s_mov_b32 s18, 0x42b17218
	v_mov_b32_e32 v8, 0x37000000
	s_mov_b32 s19, 0x3fb8aa3b
	s_mov_b32 s20, 0xc2ce8ed0
	v_mov_b32_e32 v9, 0x7f800000
	s_brev_b32 s21, -2
	v_mov_b32_e32 v10, 0x7fc00000
	v_mov_b32_e32 v6, 0
.LBB0_9:                                ; =>This Inner Loop Header: Depth=1
	s_load_dword s0, s[8:9], 0x0
	s_add_i32 s22, s22, -1
	s_waitcnt vmcnt(1) lgkmcnt(0)
	v_subrev_f32_e32 v11, s0, v3
	s_load_dword s0, s[10:11], 0x0
	s_waitcnt vmcnt(0) lgkmcnt(0)
	v_subrev_f32_e32 v12, s0, v4
	v_mul_f32_e32 v12, v12, v12
	v_fmac_f32_e32 v12, v11, v11
	v_cmp_neq_f32_e32 vcc, 1.0, v12
	v_cndmask_b32_e32 v11, 1.0, v5, vcc
	v_cmp_neq_f32_e32 vcc, 0, v11
	v_cndmask_b32_e32 v12, 1.0, v12, vcc
	v_frexp_mant_f32_e64 v13, |v12|
	v_cmp_gt_f32_e32 vcc, s12, v13
	v_cndmask_b32_e64 v14, 1.0, 2.0, vcc
	v_mul_f32_e32 v13, v13, v14
	v_add_f32_e32 v15, 1.0, v13
	v_add_f32_e32 v16, -1.0, v15
	v_add_f32_e32 v14, -1.0, v13
	v_sub_f32_e32 v13, v13, v16
	v_rcp_f32_e32 v16, v15
	v_cmp_neq_f32_e64 s[2:3], v11, |v11|
	v_cmp_lt_f32_e64 s[4:5], |v12|, 1.0
	s_xor_b64 s[2:3], s[2:3], s[4:5]
	v_mul_f32_e32 v17, v14, v16
	v_mul_f32_e32 v18, v15, v17
	v_fma_f32 v15, v17, v15, -v18
	v_fmac_f32_e32 v15, v17, v13
	v_add_f32_e32 v13, v18, v15
	v_sub_f32_e32 v19, v14, v13
	v_sub_f32_e32 v18, v13, v18
	;; [unrolled: 1-line block ×5, first 2 shown]
	v_add_f32_e32 v13, v14, v13
	v_add_f32_e32 v13, v19, v13
	v_mul_f32_e32 v13, v16, v13
	v_add_f32_e32 v15, v17, v13
	v_sub_f32_e32 v14, v15, v17
	v_sub_f32_e32 v16, v13, v14
	v_mul_f32_e32 v13, v15, v15
	v_fma_f32 v14, v15, v15, -v13
	v_add_f32_e32 v17, v16, v16
	v_fmac_f32_e32 v14, v15, v17
	v_add_f32_e32 v17, v13, v14
	v_sub_f32_e32 v13, v17, v13
	v_sub_f32_e32 v13, v14, v13
	v_mul_f32_e32 v14, v15, v17
	v_fma_f32 v19, v17, v15, -v14
	v_fmac_f32_e32 v19, v17, v16
	v_mov_b32_e32 v18, 0x3e91f4c4
	v_fmac_f32_e32 v19, v13, v15
	v_fmac_f32_e32 v18, 0x3e76c4e1, v17
	v_add_f32_e32 v20, v14, v19
	v_fma_f32 v18, v17, v18, v7
	v_sub_f32_e32 v14, v20, v14
	v_sub_f32_e32 v14, v19, v14
	v_mul_f32_e32 v19, v17, v18
	v_fma_f32 v17, v17, v18, -v19
	v_fmac_f32_e32 v17, v13, v18
	v_add_f32_e32 v13, v19, v17
	v_add_f32_e32 v18, 0x3f2aaaaa, v13
	v_sub_f32_e32 v19, v13, v19
	v_sub_f32_e32 v17, v17, v19
	v_add_f32_e32 v19, 0xbf2aaaaa, v18
	v_add_f32_e32 v17, 0x31739010, v17
	v_sub_f32_e32 v13, v13, v19
	v_add_f32_e32 v13, v17, v13
	v_add_f32_e32 v17, v18, v13
	v_sub_f32_e32 v18, v18, v17
	v_add_f32_e32 v13, v13, v18
	v_mul_f32_e32 v18, v20, v17
	v_fma_f32 v19, v20, v17, -v18
	v_fmac_f32_e32 v19, v20, v13
	v_fmac_f32_e32 v19, v14, v17
	v_cvt_f64_f32_e64 v[13:14], |v12|
	v_ldexp_f32 v15, v15, 1
	v_cmp_class_f32_e64 s[4:5], v12, s14
	v_frexp_exp_i32_f64_e32 v13, v[13:14]
	v_subbrev_co_u32_e32 v13, vcc, 0, v13, vcc
	v_cvt_f32_i32_e32 v13, v13
	v_mul_f32_e32 v14, 0x3f317218, v13
	v_fma_f32 v17, v13, s13, -v14
	v_fmac_f32_e32 v17, 0xb102e308, v13
	v_ldexp_f32 v13, v16, 1
	v_add_f32_e32 v16, v14, v17
	v_sub_f32_e32 v14, v16, v14
	v_sub_f32_e32 v14, v17, v14
	v_add_f32_e32 v17, v18, v19
	v_sub_f32_e32 v18, v17, v18
	v_sub_f32_e32 v18, v19, v18
	;; [unrolled: 3-line block ×3, first 2 shown]
	v_add_f32_e32 v13, v13, v18
	v_add_f32_e32 v13, v13, v15
	;; [unrolled: 1-line block ×3, first 2 shown]
	v_sub_f32_e32 v17, v15, v19
	v_sub_f32_e32 v13, v13, v17
	v_add_f32_e32 v17, v16, v15
	v_sub_f32_e32 v18, v17, v16
	v_sub_f32_e32 v19, v17, v18
	;; [unrolled: 1-line block ×4, first 2 shown]
	v_add_f32_e32 v15, v15, v16
	v_add_f32_e32 v16, v14, v13
	v_sub_f32_e32 v18, v16, v14
	v_sub_f32_e32 v19, v16, v18
	;; [unrolled: 1-line block ×4, first 2 shown]
	v_add_f32_e32 v13, v13, v14
	v_add_f32_e32 v14, v16, v15
	;; [unrolled: 1-line block ×3, first 2 shown]
	v_sub_f32_e32 v16, v15, v17
	v_sub_f32_e32 v14, v14, v16
	v_add_f32_e32 v13, v13, v14
	v_add_f32_e32 v14, v15, v13
	v_sub_f32_e32 v15, v14, v15
	v_sub_f32_e32 v13, v13, v15
	v_mul_f32_e32 v15, v11, v14
	v_fma_f32 v14, v11, v14, -v15
	v_fmac_f32_e32 v14, v11, v13
	v_add_f32_e32 v13, v15, v14
	v_cmp_class_f32_e64 vcc, v15, s14
	v_sub_f32_e32 v16, v13, v15
	v_cndmask_b32_e32 v13, v13, v15, vcc
	v_sub_f32_e32 v14, v14, v16
	v_cmp_neq_f32_e64 vcc, |v13|, s15
	v_cndmask_b32_e32 v14, 0, v14, vcc
	v_cmp_eq_f32_e32 vcc, s18, v13
	v_cndmask_b32_e32 v15, 0, v8, vcc
	v_sub_f32_e32 v13, v13, v15
	v_add_f32_e32 v14, v15, v14
	v_mul_f32_e32 v15, 0x3fb8aa3b, v13
	v_fma_f32 v16, v13, s19, -v15
	v_rndne_f32_e32 v17, v15
	v_fmac_f32_e32 v16, 0x32a5705f, v13
	v_sub_f32_e32 v15, v15, v17
	v_add_f32_e32 v15, v15, v16
	v_exp_f32_e32 v15, v15
	v_cvt_i32_f32_e32 v16, v17
	v_cmp_ngt_f32_e32 vcc, s20, v13
	v_ldexp_f32 v15, v15, v16
	v_cndmask_b32_e32 v15, 0, v15, vcc
	v_cmp_nlt_f32_e32 vcc, s18, v13
	v_cndmask_b32_e32 v13, v9, v15, vcc
	v_fma_f32 v14, v13, v14, v13
	v_cmp_class_f32_e64 vcc, v13, s14
	v_cndmask_b32_e32 v13, v14, v13, vcc
	v_trunc_f32_e32 v14, v11
	v_cmp_eq_f32_e32 vcc, v14, v11
	v_mul_f32_e32 v14, 0.5, v11
	v_trunc_f32_e32 v15, v14
	v_cmp_neq_f32_e64 s[0:1], v15, v14
	s_and_b64 s[0:1], vcc, s[0:1]
	v_cndmask_b32_e64 v14, 1.0, v12, s[0:1]
	v_bfi_b32 v13, s21, v13, v14
	v_cndmask_b32_e64 v14, v9, 0, s[2:3]
	v_cmp_neq_f32_e64 s[2:3], |v12|, 1.0
	v_cmp_class_f32_e64 vcc, v11, s14
	v_cndmask_b32_e64 v14, 1.0, v14, s[2:3]
	v_cmp_eq_f32_e64 s[2:3], 0, v12
	v_cndmask_b32_e32 v13, v13, v14, vcc
	s_or_b64 vcc, s[2:3], s[4:5]
	v_cmp_gt_f32_e64 s[4:5], 0, v11
	s_xor_b64 s[2:3], s[4:5], s[2:3]
	v_cndmask_b32_e64 v14, v9, 0, s[2:3]
	v_cndmask_b32_e64 v15, 0, v12, s[0:1]
	v_bfi_b32 v14, s21, v14, v15
	v_cndmask_b32_e32 v13, v13, v14, vcc
	v_div_scale_f32 v14, s[0:1], v13, v13, 1.0
	s_add_u32 s8, s8, 4
	s_load_dword s0, s[16:17], 0x0
	s_addc_u32 s9, s9, 0
	s_add_u32 s10, s10, 4
	s_addc_u32 s11, s11, 0
	s_add_u32 s16, s16, 4
	s_addc_u32 s17, s17, 0
	s_cmp_eq_u32 s22, 0
	v_rcp_f32_e32 v15, v14
	v_fma_f32 v16, -v14, v15, 1.0
	v_fmac_f32_e32 v15, v16, v15
	v_div_scale_f32 v16, vcc, 1.0, v13, 1.0
	v_mul_f32_e32 v17, v16, v15
	v_fma_f32 v18, -v14, v17, v16
	v_fmac_f32_e32 v17, v18, v15
	v_fma_f32 v14, -v14, v17, v16
	v_div_fmas_f32 v14, v14, v15, v17
	v_cmp_o_f32_e32 vcc, v12, v11
	v_div_fixup_f32 v13, v14, v13, 1.0
	v_cndmask_b32_e32 v11, v10, v13, vcc
	v_add_f32_e32 v2, v2, v11
	s_waitcnt lgkmcnt(0)
	v_fmac_f32_e32 v6, s0, v11
	s_cbranch_scc0 .LBB0_9
; %bb.10:
	v_div_scale_f32 v3, s[0:1], v2, v2, v6
	v_div_scale_f32 v4, vcc, v6, v2, v6
	v_rcp_f32_e32 v5, v3
	v_fma_f32 v7, -v3, v5, 1.0
	v_fmac_f32_e32 v5, v7, v5
	v_mul_f32_e32 v7, v4, v5
	v_fma_f32 v8, -v3, v7, v4
	v_fmac_f32_e32 v7, v8, v5
	v_fma_f32 v3, -v3, v7, v4
	v_div_fmas_f32 v3, v3, v5, v7
	v_div_fixup_f32 v2, v3, v2, v6
	s_branch .LBB0_12
.LBB0_11:
	v_mov_b32_e32 v2, 0x7fc00000
.LBB0_12:
	v_mov_b32_e32 v3, s7
	v_add_co_u32_e32 v0, vcc, s6, v0
	v_addc_co_u32_e32 v1, vcc, v3, v1, vcc
	global_store_dword v[0:1], v2, off
.LBB0_13:
	s_endpgm
	.section	.rodata,"a",@progbits
	.p2align	6, 0x0
	.amdhsa_kernel _Z11AIDW_KernelPKfS0_S0_iS0_S0_PfifS0_
		.amdhsa_group_segment_fixed_size 0
		.amdhsa_private_segment_fixed_size 0
		.amdhsa_kernarg_size 328
		.amdhsa_user_sgpr_count 6
		.amdhsa_user_sgpr_private_segment_buffer 1
		.amdhsa_user_sgpr_dispatch_ptr 0
		.amdhsa_user_sgpr_queue_ptr 0
		.amdhsa_user_sgpr_kernarg_segment_ptr 1
		.amdhsa_user_sgpr_dispatch_id 0
		.amdhsa_user_sgpr_flat_scratch_init 0
		.amdhsa_user_sgpr_private_segment_size 0
		.amdhsa_uses_dynamic_stack 0
		.amdhsa_system_sgpr_private_segment_wavefront_offset 0
		.amdhsa_system_sgpr_workgroup_id_x 1
		.amdhsa_system_sgpr_workgroup_id_y 0
		.amdhsa_system_sgpr_workgroup_id_z 0
		.amdhsa_system_sgpr_workgroup_info 0
		.amdhsa_system_vgpr_workitem_id 0
		.amdhsa_next_free_vgpr 21
		.amdhsa_next_free_sgpr 24
		.amdhsa_reserve_vcc 1
		.amdhsa_reserve_flat_scratch 0
		.amdhsa_float_round_mode_32 0
		.amdhsa_float_round_mode_16_64 0
		.amdhsa_float_denorm_mode_32 3
		.amdhsa_float_denorm_mode_16_64 3
		.amdhsa_dx10_clamp 1
		.amdhsa_ieee_mode 1
		.amdhsa_fp16_overflow 0
		.amdhsa_exception_fp_ieee_invalid_op 0
		.amdhsa_exception_fp_denorm_src 0
		.amdhsa_exception_fp_ieee_div_zero 0
		.amdhsa_exception_fp_ieee_overflow 0
		.amdhsa_exception_fp_ieee_underflow 0
		.amdhsa_exception_fp_ieee_inexact 0
		.amdhsa_exception_int_div_zero 0
	.end_amdhsa_kernel
	.text
.Lfunc_end0:
	.size	_Z11AIDW_KernelPKfS0_S0_iS0_S0_PfifS0_, .Lfunc_end0-_Z11AIDW_KernelPKfS0_S0_iS0_S0_PfifS0_
                                        ; -- End function
	.set _Z11AIDW_KernelPKfS0_S0_iS0_S0_PfifS0_.num_vgpr, 21
	.set _Z11AIDW_KernelPKfS0_S0_iS0_S0_PfifS0_.num_agpr, 0
	.set _Z11AIDW_KernelPKfS0_S0_iS0_S0_PfifS0_.numbered_sgpr, 24
	.set _Z11AIDW_KernelPKfS0_S0_iS0_S0_PfifS0_.num_named_barrier, 0
	.set _Z11AIDW_KernelPKfS0_S0_iS0_S0_PfifS0_.private_seg_size, 0
	.set _Z11AIDW_KernelPKfS0_S0_iS0_S0_PfifS0_.uses_vcc, 1
	.set _Z11AIDW_KernelPKfS0_S0_iS0_S0_PfifS0_.uses_flat_scratch, 0
	.set _Z11AIDW_KernelPKfS0_S0_iS0_S0_PfifS0_.has_dyn_sized_stack, 0
	.set _Z11AIDW_KernelPKfS0_S0_iS0_S0_PfifS0_.has_recursion, 0
	.set _Z11AIDW_KernelPKfS0_S0_iS0_S0_PfifS0_.has_indirect_call, 0
	.section	.AMDGPU.csdata,"",@progbits
; Kernel info:
; codeLenInByte = 2908
; TotalNumSgprs: 28
; NumVgprs: 21
; ScratchSize: 0
; MemoryBound: 0
; FloatMode: 240
; IeeeMode: 1
; LDSByteSize: 0 bytes/workgroup (compile time only)
; SGPRBlocks: 3
; VGPRBlocks: 5
; NumSGPRsForWavesPerEU: 28
; NumVGPRsForWavesPerEU: 21
; Occupancy: 10
; WaveLimiterHint : 0
; COMPUTE_PGM_RSRC2:SCRATCH_EN: 0
; COMPUTE_PGM_RSRC2:USER_SGPR: 6
; COMPUTE_PGM_RSRC2:TRAP_HANDLER: 0
; COMPUTE_PGM_RSRC2:TGID_X_EN: 1
; COMPUTE_PGM_RSRC2:TGID_Y_EN: 0
; COMPUTE_PGM_RSRC2:TGID_Z_EN: 0
; COMPUTE_PGM_RSRC2:TIDIG_COMP_CNT: 0
	.text
	.protected	_Z17AIDW_Kernel_TiledPKfS0_S0_iS0_S0_PfifS0_ ; -- Begin function _Z17AIDW_Kernel_TiledPKfS0_S0_iS0_S0_PfifS0_
	.globl	_Z17AIDW_Kernel_TiledPKfS0_S0_iS0_S0_PfifS0_
	.p2align	8
	.type	_Z17AIDW_Kernel_TiledPKfS0_S0_iS0_S0_PfifS0_,@function
_Z17AIDW_Kernel_TiledPKfS0_S0_iS0_S0_PfifS0_: ; @_Z17AIDW_Kernel_TiledPKfS0_S0_iS0_S0_PfifS0_
; %bb.0:
	s_load_dword s2, s[4:5], 0x54
	s_load_dwordx2 s[0:1], s[4:5], 0x38
	s_waitcnt lgkmcnt(0)
	s_and_b32 s2, s2, 0xffff
	s_mul_i32 s6, s6, s2
	v_add_u32_e32 v1, s6, v0
	v_cmp_gt_i32_e32 vcc, s0, v1
	s_and_saveexec_b64 s[2:3], vcc
	s_cbranch_execz .LBB1_17
; %bb.1:
	s_load_dword s22, s[4:5], 0x18
	v_ashrrev_i32_e32 v2, 31, v1
	v_lshlrev_b64 v[1:2], 2, v[1:2]
	s_mov_b32 s0, 0xf800000
	s_waitcnt lgkmcnt(0)
	v_cvt_f32_i32_e32 v5, s22
	v_div_scale_f32 v3, s[2:3], s1, s1, v5
	v_div_scale_f32 v4, vcc, v5, s1, v5
	s_load_dwordx2 s[2:3], s[4:5], 0x40
	s_load_dwordx2 s[6:7], s[4:5], 0x30
	s_waitcnt lgkmcnt(0)
	v_mov_b32_e32 v7, s3
	v_rcp_f32_e32 v6, v3
	v_fma_f32 v8, -v3, v6, 1.0
	v_fmac_f32_e32 v6, v8, v6
	v_mul_f32_e32 v8, v4, v6
	v_fma_f32 v9, -v3, v8, v4
	v_fmac_f32_e32 v8, v9, v6
	v_fma_f32 v3, -v3, v8, v4
	v_div_fmas_f32 v6, v3, v6, v8
	v_add_co_u32_e32 v3, vcc, s2, v1
	v_addc_co_u32_e32 v4, vcc, v7, v2, vcc
	global_load_dword v3, v[3:4], off
	s_load_dwordx4 s[12:15], s[4:5], 0x20
	s_load_dwordx4 s[8:11], s[4:5], 0x0
	s_load_dwordx2 s[16:17], s[4:5], 0x10
	v_div_fixup_f32 v4, v6, s1, v5
	v_mul_f32_e32 v5, 0x4f800000, v4
	v_cmp_gt_f32_e32 vcc, s0, v4
	v_cndmask_b32_e32 v4, v4, v5, vcc
	v_sqrt_f32_e32 v5, v4
	v_mov_b32_e32 v6, 0x260
	v_add_u32_e32 v7, -1, v5
	v_add_u32_e32 v8, 1, v5
	v_fma_f32 v9, -v7, v5, v4
	v_fma_f32 v10, -v8, v5, v4
	v_cmp_ge_f32_e64 s[0:1], 0, v9
	v_cndmask_b32_e64 v5, v5, v7, s[0:1]
	v_cmp_lt_f32_e64 s[0:1], 0, v10
	v_cndmask_b32_e64 v5, v5, v8, s[0:1]
	v_mul_f32_e32 v7, 0x37800000, v5
	v_cndmask_b32_e32 v5, v5, v7, vcc
	v_cmp_class_f32_e32 vcc, v4, v6
	v_cndmask_b32_e32 v4, v5, v4, vcc
	v_div_scale_f32 v5, s[0:1], v4, v4, 0.5
	v_div_scale_f32 v6, vcc, 0.5, v4, 0.5
	v_rcp_f32_e32 v7, v5
	v_fma_f32 v8, -v5, v7, 1.0
	v_fmac_f32_e32 v7, v8, v7
	v_mul_f32_e32 v8, v6, v7
	v_fma_f32 v9, -v5, v8, v6
	v_fmac_f32_e32 v8, v9, v7
	v_fma_f32 v5, -v5, v8, v6
	v_div_fmas_f32 v5, v5, v7, v8
	v_div_fixup_f32 v5, v5, v4, 0.5
	s_waitcnt vmcnt(0)
	v_div_scale_f32 v4, s[0:1], v5, v5, v3
	v_div_scale_f32 v6, vcc, v3, v5, v3
	v_rcp_f32_e32 v7, v4
	v_fma_f32 v8, -v4, v7, 1.0
	v_fmac_f32_e32 v7, v8, v7
	v_mul_f32_e32 v8, v6, v7
	v_fma_f32 v9, -v4, v8, v6
	v_fmac_f32_e32 v8, v9, v7
	v_fma_f32 v4, -v4, v8, v6
	v_div_fmas_f32 v6, v4, v7, v8
	v_mov_b32_e32 v4, 0
	v_div_fixup_f32 v3, v6, v5, v3
	v_cmp_le_f32_e32 vcc, 0, v3
	s_and_saveexec_b64 s[18:19], vcc
	s_cbranch_execz .LBB1_7
; %bb.2:
	v_mul_f32_e32 v4, 0x3fc90fda, v3
	s_brev_b32 s0, 18
	s_mov_b32 s23, 0x3fc90fda
	v_cmp_nlt_f32_e64 s[0:1], |v4|, s0
                                        ; implicit-def: $vgpr5
                                        ; implicit-def: $vgpr6
	s_and_saveexec_b64 s[2:3], s[0:1]
	s_xor_b64 s[20:21], exec, s[2:3]
	s_cbranch_execz .LBB1_4
; %bb.3:
	v_and_b32_e32 v12, 0x7fffffff, v4
	v_and_b32_e32 v5, 0x7fffff, v12
	v_or_b32_e32 v14, 0x800000, v5
	s_mov_b32 s0, 0xfe5163ab
	v_mad_u64_u32 v[5:6], s[0:1], v14, s0, 0
	v_mov_b32_e32 v7, 0
	s_mov_b32 s0, 0x3c439041
	v_mad_u64_u32 v[8:9], s[0:1], v14, s0, v[6:7]
	s_mov_b32 s0, 0xdb629599
	v_not_b32_e32 v13, 63
	v_mov_b32_e32 v6, v9
	v_mad_u64_u32 v[9:10], s[0:1], v14, s0, v[6:7]
	s_mov_b32 s0, 0xf534ddc0
	v_not_b32_e32 v16, 31
	v_mov_b32_e32 v6, v10
	v_mad_u64_u32 v[10:11], s[0:1], v14, s0, v[6:7]
	v_lshrrev_b32_e32 v6, 23, v12
	v_add_u32_e32 v15, 0xffffff88, v6
	v_mov_b32_e32 v6, v11
	s_mov_b32 s0, 0xfc2757d1
	v_mad_u64_u32 v[11:12], s[0:1], v14, s0, v[6:7]
	v_cmp_lt_u32_e32 vcc, 63, v15
	v_cndmask_b32_e32 v6, 0, v13, vcc
	v_add_u32_e32 v15, v6, v15
	v_mov_b32_e32 v6, v12
	s_mov_b32 s0, 0x4e441529
	v_mad_u64_u32 v[12:13], s[0:1], v14, s0, v[6:7]
	v_cmp_lt_u32_e64 s[0:1], 31, v15
	v_cndmask_b32_e64 v6, 0, v16, s[0:1]
	v_add_u32_e32 v15, v6, v15
	v_mov_b32_e32 v6, v13
	s_mov_b32 s2, 0xa2f9836e
	v_mad_u64_u32 v[6:7], s[2:3], v14, s2, v[6:7]
	v_cmp_lt_u32_e64 s[2:3], 31, v15
	v_cndmask_b32_e64 v13, 0, v16, s[2:3]
	v_cndmask_b32_e32 v14, v12, v10, vcc
	v_cndmask_b32_e32 v6, v6, v11, vcc
	;; [unrolled: 1-line block ×3, first 2 shown]
	v_add_u32_e32 v13, v13, v15
	v_cndmask_b32_e64 v15, v6, v14, s[0:1]
	v_cndmask_b32_e64 v6, v7, v6, s[0:1]
	v_cndmask_b32_e32 v7, v11, v9, vcc
	v_cndmask_b32_e64 v11, v14, v7, s[0:1]
	v_cndmask_b32_e64 v6, v6, v15, s[2:3]
	;; [unrolled: 1-line block ×3, first 2 shown]
	v_sub_u32_e32 v14, 32, v13
	v_alignbit_b32 v15, v6, v12, v14
	v_cmp_eq_u32_e64 s[4:5], 0, v13
	v_cndmask_b32_e64 v13, v15, v6, s[4:5]
	v_cndmask_b32_e32 v6, v10, v8, vcc
	v_cndmask_b32_e64 v7, v7, v6, s[0:1]
	v_cndmask_b32_e64 v8, v11, v7, s[2:3]
	v_alignbit_b32 v10, v12, v8, v14
	v_cndmask_b32_e32 v5, v9, v5, vcc
	v_cndmask_b32_e64 v10, v10, v12, s[4:5]
	v_bfe_u32 v15, v13, 29, 1
	v_cndmask_b32_e64 v5, v6, v5, s[0:1]
	v_alignbit_b32 v11, v13, v10, 30
	v_sub_u32_e32 v16, 0, v15
	v_cndmask_b32_e64 v5, v7, v5, s[2:3]
	v_xor_b32_e32 v11, v11, v16
	v_alignbit_b32 v6, v8, v5, v14
	v_cndmask_b32_e64 v6, v6, v8, s[4:5]
	v_ffbh_u32_e32 v8, v11
	v_alignbit_b32 v7, v10, v6, 30
	v_min_u32_e32 v8, 32, v8
	v_alignbit_b32 v5, v6, v5, 30
	v_xor_b32_e32 v7, v7, v16
	v_sub_u32_e32 v9, 31, v8
	v_xor_b32_e32 v5, v5, v16
	v_alignbit_b32 v10, v11, v7, v9
	v_alignbit_b32 v5, v7, v5, v9
	;; [unrolled: 1-line block ×3, first 2 shown]
	v_ffbh_u32_e32 v7, v6
	v_min_u32_e32 v7, 32, v7
	v_lshrrev_b32_e32 v12, 29, v13
	v_not_b32_e32 v9, v7
	v_alignbit_b32 v5, v6, v5, v9
	v_lshlrev_b32_e32 v6, 31, v12
	v_or_b32_e32 v9, 0x33000000, v6
	v_add_lshl_u32 v7, v7, v8, 23
	v_lshrrev_b32_e32 v5, 9, v5
	v_sub_u32_e32 v7, v9, v7
	v_or_b32_e32 v6, 0.5, v6
	v_lshlrev_b32_e32 v8, 23, v8
	v_or_b32_e32 v5, v7, v5
	v_lshrrev_b32_e32 v7, 9, v10
	v_sub_u32_e32 v6, v6, v8
	v_or_b32_e32 v6, v7, v6
	v_mul_f32_e32 v7, 0x3fc90fda, v6
	v_fma_f32 v8, v6, s23, -v7
	v_fmac_f32_e32 v8, 0x33a22168, v6
	v_fmac_f32_e32 v8, 0x3fc90fda, v5
	v_lshrrev_b32_e32 v5, 30, v13
	v_add_f32_e32 v6, v7, v8
	v_add_u32_e32 v5, v15, v5
.LBB1_4:
	s_andn2_saveexec_b64 s[0:1], s[20:21]
	s_cbranch_execz .LBB1_6
; %bb.5:
	s_mov_b32 s2, 0x3f22f983
	v_mul_f32_e64 v5, |v4|, s2
	v_rndne_f32_e32 v7, v5
	s_mov_b32 s2, 0xbfc90fda
	v_cvt_i32_f32_e32 v5, v7
	v_fma_f32 v6, v7, s2, |v4|
	v_fmac_f32_e32 v6, 0xb3a22168, v7
	v_fmac_f32_e32 v6, 0xa7c234c4, v7
.LBB1_6:
	s_or_b64 exec, exec, s[0:1]
	v_mul_f32_e32 v7, v6, v6
	v_mov_b32_e32 v8, 0x3c0881c4
	v_fmac_f32_e32 v8, 0xb94c1982, v7
	v_mov_b32_e32 v9, 0xbe2aaa9d
	v_fmac_f32_e32 v9, v7, v8
	v_mul_f32_e32 v8, v7, v9
	v_fmac_f32_e32 v6, v6, v8
	v_mov_b32_e32 v8, 0xbab64f3b
	v_fmac_f32_e32 v8, 0x37d75334, v7
	v_mov_b32_e32 v9, 0x3d2aabf7
	;; [unrolled: 2-line block ×3, first 2 shown]
	v_fmac_f32_e32 v8, v7, v9
	v_fma_f32 v7, v7, v8, 1.0
	v_and_b32_e32 v8, 1, v5
	v_cmp_eq_u32_e32 vcc, 0, v8
	v_lshlrev_b32_e32 v5, 30, v5
	v_cndmask_b32_e64 v6, -v6, v7, vcc
	v_and_b32_e32 v5, 0x80000000, v5
	v_xor_b32_e32 v5, v5, v6
	s_movk_i32 s0, 0x1f8
	v_fma_f32 v5, v5, -0.5, 0.5
	v_mov_b32_e32 v6, 0x7fc00000
	v_cmp_class_f32_e64 vcc, v4, s0
	v_cndmask_b32_e32 v4, v6, v5, vcc
.LBB1_7:
	s_or_b64 exec, exec, s[18:19]
	s_cmpk_lt_i32 s22, 0xff02
	v_mov_b32_e32 v5, 0x7fc00000
	s_cbranch_scc1 .LBB1_16
; %bb.8:
	s_waitcnt lgkmcnt(0)
	v_mov_b32_e32 v6, s13
	v_add_co_u32_e32 v5, vcc, s12, v1
	v_addc_co_u32_e32 v6, vcc, v6, v2, vcc
	global_load_dword v5, v[5:6], off
	v_mov_b32_e32 v7, s15
	v_add_co_u32_e32 v6, vcc, s14, v1
	v_addc_co_u32_e32 v7, vcc, v7, v2, vcc
	global_load_dword v6, v[6:7], off
	v_cmp_nle_f32_e32 vcc, 2.0, v3
	v_cndmask_b32_e32 v3, 1.0, v4, vcc
	s_mov_b32 s2, 0x3dcccccd
	v_cmp_le_f32_e32 vcc, 0, v3
	v_cmp_ge_f32_e64 s[0:1], s2, v3
	v_mov_b32_e32 v7, 0x3fc00000
	s_and_b64 vcc, vcc, s[0:1]
	v_add_f32_e32 v8, 0xbdcccccd, v3
	s_mov_b32 s3, 0xc0a00000
	v_cndmask_b32_e32 v7, 0, v7, vcc
	v_cmp_lt_f32_e32 vcc, s2, v3
	s_mov_b32 s2, 0x3e99999a
	v_fma_f32 v9, v8, s3, 1.0
	v_cmp_ge_f32_e64 s[0:1], s2, v3
	v_mul_f32_e32 v9, 0x3fc00000, v9
	v_fmac_f32_e32 v9, 0x41200000, v8
	s_and_b64 vcc, vcc, s[0:1]
	v_add_f32_e32 v8, 0xbe99999a, v3
	v_cndmask_b32_e32 v7, v7, v9, vcc
	v_fma_f32 v9, v8, s3, 1.0
	v_cmp_lt_f32_e32 vcc, s2, v3
	v_cmp_ge_f32_e64 s[0:1], 0.5, v3
	v_mul_f32_e32 v9, 0x3fc00000, v9
	v_fmac_f32_e32 v9, 0x41480000, v8
	s_and_b64 vcc, vcc, s[0:1]
	v_add_f32_e32 v8, -0.5, v3
	v_cndmask_b32_e32 v7, v7, v9, vcc
	s_mov_b32 s2, 0x3f333333
	v_fma_f32 v9, v8, s3, 1.0
	v_cmp_lt_f32_e32 vcc, 0.5, v3
	v_cmp_ge_f32_e64 s[0:1], s2, v3
	v_mul_f32_e32 v9, 0x40200000, v9
	v_fmac_f32_e32 v9, 0x41700000, v8
	s_and_b64 vcc, vcc, s[0:1]
	v_add_f32_e32 v8, 0xbf333333, v3
	v_cndmask_b32_e32 v7, v7, v9, vcc
	v_cmp_lt_f32_e32 vcc, s2, v3
	s_mov_b32 s2, 0x3f666666
	v_fma_f32 v9, v8, s3, 1.0
	v_cmp_ge_f32_e64 s[0:1], s2, v3
	v_mul_f32_e32 v9, 0x40400000, v9
	v_fmac_f32_e32 v9, 0x418c0000, v8
	s_and_b64 vcc, vcc, s[0:1]
	v_cndmask_b32_e32 v7, v7, v9, vcc
	v_cmp_lt_f32_e32 vcc, s2, v3
	v_cmp_ge_f32_e64 s[0:1], 1.0, v3
	s_and_b64 vcc, vcc, s[0:1]
	s_add_i32 s0, s22, -1
	s_ashr_i32 s1, s0, 31
	s_lshr_b32 s1, s1, 24
	s_add_i32 s0, s0, s1
	v_mul_f32_e32 v3, 0.5, v7
	v_mov_b32_e32 v7, 0x3fe00000
	s_ashr_i32 s0, s0, 8
	v_lshlrev_b32_e32 v8, 2, v0
	v_mov_b32_e32 v4, 0
	v_cndmask_b32_e32 v7, v3, v7, vcc
	v_add_u32_e32 v9, 0x400, v8
	v_add_u32_e32 v11, 0x800, v8
	s_mov_b32 s14, 0
	s_max_i32 s12, s0, 0
	s_mov_b32 s13, 0x3f2aaaab
	v_mov_b32_e32 v13, 0x3ecccdef
	s_mov_b32 s15, 0x3f317218
	s_movk_i32 s18, 0x204
	s_mov_b32 s19, 0x7f800000
	s_mov_b32 s20, 0x42b17218
	v_mov_b32_e32 v14, 0x37000000
	s_mov_b32 s21, 0x3fb8aa3b
	s_mov_b32 s23, 0xc2ce8ed0
	v_mov_b32_e32 v15, 0x7f800000
	s_brev_b32 s24, -2
	v_mov_b32_e32 v16, 0x7fc00000
	v_mov_b32_e32 v10, 0
	;; [unrolled: 1-line block ×3, first 2 shown]
.LBB1_9:                                ; =>This Loop Header: Depth=1
                                        ;     Child Loop BB1_12 Depth 2
	s_lshl_b32 s2, s14, 8
	s_sub_i32 s0, s22, s2
	s_min_i32 s0, s0, 0x100
	v_cmp_gt_i32_e32 vcc, s0, v0
	s_and_saveexec_b64 s[0:1], vcc
	s_cbranch_execz .LBB1_11
; %bb.10:                               ;   in Loop: Header=BB1_9 Depth=1
	v_add_u32_e32 v3, s2, v0
	v_lshlrev_b64 v[17:18], 2, v[3:4]
	v_mov_b32_e32 v3, s9
	v_add_co_u32_e32 v19, vcc, s8, v17
	v_addc_co_u32_e32 v20, vcc, v3, v18, vcc
	global_load_dword v3, v[19:20], off
	v_mov_b32_e32 v20, s11
	v_add_co_u32_e32 v19, vcc, s10, v17
	v_addc_co_u32_e32 v20, vcc, v20, v18, vcc
	global_load_dword v19, v[19:20], off
	;; [unrolled: 4-line block ×3, first 2 shown]
	s_waitcnt vmcnt(2)
	ds_write_b32 v8, v3
	s_waitcnt vmcnt(1)
	ds_write_b32 v9, v19
	;; [unrolled: 2-line block ×3, first 2 shown]
.LBB1_11:                               ;   in Loop: Header=BB1_9 Depth=1
	s_or_b64 exec, exec, s[0:1]
	s_mov_b32 s25, 0
	s_waitcnt vmcnt(0) lgkmcnt(0)
	s_barrier
.LBB1_12:                               ;   Parent Loop BB1_9 Depth=1
                                        ; =>  This Inner Loop Header: Depth=2
	v_mov_b32_e32 v3, s25
	ds_read2st64_b32 v[17:18], v3 offset1:4
	ds_read_b32 v3, v3 offset:2048
	s_add_i32 s25, s25, 4
	s_waitcnt lgkmcnt(1)
	v_sub_f32_e32 v18, v6, v18
	v_sub_f32_e32 v17, v5, v17
	v_mul_f32_e32 v18, v18, v18
	v_fmac_f32_e32 v18, v17, v17
	v_cmp_neq_f32_e32 vcc, 1.0, v18
	v_cndmask_b32_e32 v17, 1.0, v7, vcc
	v_cmp_neq_f32_e32 vcc, 0, v17
	v_cndmask_b32_e32 v18, 1.0, v18, vcc
	v_frexp_mant_f32_e64 v19, |v18|
	v_cmp_gt_f32_e32 vcc, s13, v19
	v_cndmask_b32_e64 v20, 1.0, 2.0, vcc
	v_mul_f32_e32 v19, v19, v20
	v_add_f32_e32 v21, 1.0, v19
	v_add_f32_e32 v22, -1.0, v21
	v_add_f32_e32 v20, -1.0, v19
	v_sub_f32_e32 v19, v19, v22
	v_rcp_f32_e32 v22, v21
	v_cmp_neq_f32_e64 s[2:3], v17, |v17|
	v_cmp_lt_f32_e64 s[4:5], |v18|, 1.0
	s_xor_b64 s[2:3], s[2:3], s[4:5]
	v_mul_f32_e32 v23, v20, v22
	v_mul_f32_e32 v24, v21, v23
	v_fma_f32 v21, v23, v21, -v24
	v_fmac_f32_e32 v21, v23, v19
	v_add_f32_e32 v19, v24, v21
	v_sub_f32_e32 v25, v20, v19
	v_sub_f32_e32 v24, v19, v24
	;; [unrolled: 1-line block ×5, first 2 shown]
	v_add_f32_e32 v19, v20, v19
	v_add_f32_e32 v19, v25, v19
	v_mul_f32_e32 v19, v22, v19
	v_add_f32_e32 v21, v23, v19
	v_sub_f32_e32 v20, v21, v23
	v_sub_f32_e32 v22, v19, v20
	v_mul_f32_e32 v19, v21, v21
	v_fma_f32 v20, v21, v21, -v19
	v_add_f32_e32 v23, v22, v22
	v_fmac_f32_e32 v20, v21, v23
	v_add_f32_e32 v23, v19, v20
	v_sub_f32_e32 v19, v23, v19
	v_sub_f32_e32 v19, v20, v19
	v_mul_f32_e32 v20, v21, v23
	v_fma_f32 v25, v23, v21, -v20
	v_fmac_f32_e32 v25, v23, v22
	v_mov_b32_e32 v24, 0x3e91f4c4
	v_fmac_f32_e32 v25, v19, v21
	v_fmac_f32_e32 v24, 0x3e76c4e1, v23
	v_add_f32_e32 v26, v20, v25
	v_fma_f32 v24, v23, v24, v13
	v_sub_f32_e32 v20, v26, v20
	v_sub_f32_e32 v20, v25, v20
	v_mul_f32_e32 v25, v23, v24
	v_fma_f32 v23, v23, v24, -v25
	v_fmac_f32_e32 v23, v19, v24
	v_add_f32_e32 v19, v25, v23
	v_add_f32_e32 v24, 0x3f2aaaaa, v19
	v_sub_f32_e32 v25, v19, v25
	v_sub_f32_e32 v23, v23, v25
	v_add_f32_e32 v25, 0xbf2aaaaa, v24
	v_add_f32_e32 v23, 0x31739010, v23
	v_sub_f32_e32 v19, v19, v25
	v_add_f32_e32 v19, v23, v19
	v_add_f32_e32 v23, v24, v19
	v_sub_f32_e32 v24, v24, v23
	v_add_f32_e32 v19, v19, v24
	v_mul_f32_e32 v24, v26, v23
	v_fma_f32 v25, v26, v23, -v24
	v_fmac_f32_e32 v25, v26, v19
	v_fmac_f32_e32 v25, v20, v23
	v_cvt_f64_f32_e64 v[19:20], |v18|
	v_ldexp_f32 v21, v21, 1
	v_cmp_class_f32_e64 s[4:5], v18, s18
	v_frexp_exp_i32_f64_e32 v19, v[19:20]
	v_subbrev_co_u32_e32 v19, vcc, 0, v19, vcc
	v_cvt_f32_i32_e32 v19, v19
	v_mul_f32_e32 v20, 0x3f317218, v19
	v_fma_f32 v23, v19, s15, -v20
	v_fmac_f32_e32 v23, 0xb102e308, v19
	v_ldexp_f32 v19, v22, 1
	v_add_f32_e32 v22, v20, v23
	v_sub_f32_e32 v20, v22, v20
	v_sub_f32_e32 v20, v23, v20
	v_add_f32_e32 v23, v24, v25
	v_sub_f32_e32 v24, v23, v24
	v_sub_f32_e32 v24, v25, v24
	;; [unrolled: 3-line block ×3, first 2 shown]
	v_add_f32_e32 v19, v19, v24
	v_add_f32_e32 v19, v19, v21
	;; [unrolled: 1-line block ×3, first 2 shown]
	v_sub_f32_e32 v23, v21, v25
	v_sub_f32_e32 v19, v19, v23
	v_add_f32_e32 v23, v22, v21
	v_sub_f32_e32 v24, v23, v22
	v_sub_f32_e32 v25, v23, v24
	;; [unrolled: 1-line block ×4, first 2 shown]
	v_add_f32_e32 v21, v21, v22
	v_add_f32_e32 v22, v20, v19
	v_sub_f32_e32 v24, v22, v20
	v_sub_f32_e32 v25, v22, v24
	;; [unrolled: 1-line block ×4, first 2 shown]
	v_add_f32_e32 v19, v19, v20
	v_add_f32_e32 v20, v22, v21
	;; [unrolled: 1-line block ×3, first 2 shown]
	v_sub_f32_e32 v22, v21, v23
	v_sub_f32_e32 v20, v20, v22
	v_add_f32_e32 v19, v19, v20
	v_add_f32_e32 v20, v21, v19
	v_sub_f32_e32 v21, v20, v21
	v_sub_f32_e32 v19, v19, v21
	v_mul_f32_e32 v21, v17, v20
	v_fma_f32 v20, v17, v20, -v21
	v_fmac_f32_e32 v20, v17, v19
	v_add_f32_e32 v19, v21, v20
	v_cmp_class_f32_e64 vcc, v21, s18
	v_sub_f32_e32 v22, v19, v21
	v_cndmask_b32_e32 v19, v19, v21, vcc
	v_sub_f32_e32 v20, v20, v22
	v_cmp_neq_f32_e64 vcc, |v19|, s19
	v_cndmask_b32_e32 v20, 0, v20, vcc
	v_cmp_eq_f32_e32 vcc, s20, v19
	v_cndmask_b32_e32 v21, 0, v14, vcc
	v_sub_f32_e32 v19, v19, v21
	v_add_f32_e32 v20, v21, v20
	v_mul_f32_e32 v21, 0x3fb8aa3b, v19
	v_fma_f32 v22, v19, s21, -v21
	v_rndne_f32_e32 v23, v21
	v_fmac_f32_e32 v22, 0x32a5705f, v19
	v_sub_f32_e32 v21, v21, v23
	v_add_f32_e32 v21, v21, v22
	v_exp_f32_e32 v21, v21
	v_cvt_i32_f32_e32 v22, v23
	v_cmp_ngt_f32_e32 vcc, s23, v19
	v_ldexp_f32 v21, v21, v22
	v_cndmask_b32_e32 v21, 0, v21, vcc
	v_cmp_nlt_f32_e32 vcc, s20, v19
	v_cndmask_b32_e32 v19, v15, v21, vcc
	v_fma_f32 v20, v19, v20, v19
	v_cmp_class_f32_e64 vcc, v19, s18
	v_cndmask_b32_e32 v19, v20, v19, vcc
	v_trunc_f32_e32 v20, v17
	v_cmp_eq_f32_e32 vcc, v20, v17
	v_mul_f32_e32 v20, 0.5, v17
	v_trunc_f32_e32 v21, v20
	v_cmp_neq_f32_e64 s[0:1], v21, v20
	s_and_b64 s[0:1], vcc, s[0:1]
	v_cndmask_b32_e64 v20, 1.0, v18, s[0:1]
	v_bfi_b32 v19, s24, v19, v20
	v_cndmask_b32_e64 v20, v15, 0, s[2:3]
	v_cmp_neq_f32_e64 s[2:3], |v18|, 1.0
	v_cmp_class_f32_e64 vcc, v17, s18
	v_cndmask_b32_e64 v20, 1.0, v20, s[2:3]
	v_cmp_eq_f32_e64 s[2:3], 0, v18
	v_cndmask_b32_e32 v19, v19, v20, vcc
	s_or_b64 vcc, s[2:3], s[4:5]
	v_cmp_gt_f32_e64 s[4:5], 0, v17
	s_xor_b64 s[2:3], s[4:5], s[2:3]
	v_cndmask_b32_e64 v20, v15, 0, s[2:3]
	v_cndmask_b32_e64 v21, 0, v18, s[0:1]
	v_bfi_b32 v20, s24, v20, v21
	v_cndmask_b32_e32 v19, v19, v20, vcc
	v_div_scale_f32 v20, s[0:1], v19, v19, 1.0
	s_cmpk_lg_i32 s25, 0x400
	v_rcp_f32_e32 v21, v20
	v_fma_f32 v22, -v20, v21, 1.0
	v_fmac_f32_e32 v21, v22, v21
	v_div_scale_f32 v22, vcc, 1.0, v19, 1.0
	v_mul_f32_e32 v23, v22, v21
	v_fma_f32 v24, -v20, v23, v22
	v_fmac_f32_e32 v23, v24, v21
	v_fma_f32 v20, -v20, v23, v22
	v_div_fmas_f32 v20, v20, v21, v23
	v_cmp_o_f32_e32 vcc, v18, v17
	v_div_fixup_f32 v19, v20, v19, 1.0
	v_cndmask_b32_e32 v17, v16, v19, vcc
	v_add_f32_e32 v12, v12, v17
	s_waitcnt lgkmcnt(0)
	v_fmac_f32_e32 v10, v3, v17
	s_cbranch_scc1 .LBB1_12
; %bb.13:                               ;   in Loop: Header=BB1_9 Depth=1
	s_add_i32 s0, s14, 1
	s_cmp_lg_u32 s14, s12
	s_barrier
	s_cbranch_scc0 .LBB1_15
; %bb.14:                               ;   in Loop: Header=BB1_9 Depth=1
	s_mov_b32 s14, s0
	s_branch .LBB1_9
.LBB1_15:
	v_div_scale_f32 v0, s[0:1], v12, v12, v10
	v_div_scale_f32 v3, vcc, v10, v12, v10
	v_rcp_f32_e32 v4, v0
	v_fma_f32 v5, -v0, v4, 1.0
	v_fmac_f32_e32 v4, v5, v4
	v_mul_f32_e32 v5, v3, v4
	v_fma_f32 v6, -v0, v5, v3
	v_fmac_f32_e32 v5, v6, v4
	v_fma_f32 v0, -v0, v5, v3
	v_div_fmas_f32 v0, v0, v4, v5
	v_div_fixup_f32 v5, v0, v12, v10
.LBB1_16:
	v_mov_b32_e32 v3, s7
	v_add_co_u32_e32 v0, vcc, s6, v1
	v_addc_co_u32_e32 v1, vcc, v3, v2, vcc
	global_store_dword v[0:1], v5, off
.LBB1_17:
	s_endpgm
	.section	.rodata,"a",@progbits
	.p2align	6, 0x0
	.amdhsa_kernel _Z17AIDW_Kernel_TiledPKfS0_S0_iS0_S0_PfifS0_
		.amdhsa_group_segment_fixed_size 3072
		.amdhsa_private_segment_fixed_size 0
		.amdhsa_kernarg_size 328
		.amdhsa_user_sgpr_count 6
		.amdhsa_user_sgpr_private_segment_buffer 1
		.amdhsa_user_sgpr_dispatch_ptr 0
		.amdhsa_user_sgpr_queue_ptr 0
		.amdhsa_user_sgpr_kernarg_segment_ptr 1
		.amdhsa_user_sgpr_dispatch_id 0
		.amdhsa_user_sgpr_flat_scratch_init 0
		.amdhsa_user_sgpr_private_segment_size 0
		.amdhsa_uses_dynamic_stack 0
		.amdhsa_system_sgpr_private_segment_wavefront_offset 0
		.amdhsa_system_sgpr_workgroup_id_x 1
		.amdhsa_system_sgpr_workgroup_id_y 0
		.amdhsa_system_sgpr_workgroup_id_z 0
		.amdhsa_system_sgpr_workgroup_info 0
		.amdhsa_system_vgpr_workitem_id 0
		.amdhsa_next_free_vgpr 29
		.amdhsa_next_free_sgpr 61
		.amdhsa_reserve_vcc 1
		.amdhsa_reserve_flat_scratch 0
		.amdhsa_float_round_mode_32 0
		.amdhsa_float_round_mode_16_64 0
		.amdhsa_float_denorm_mode_32 3
		.amdhsa_float_denorm_mode_16_64 3
		.amdhsa_dx10_clamp 1
		.amdhsa_ieee_mode 1
		.amdhsa_fp16_overflow 0
		.amdhsa_exception_fp_ieee_invalid_op 0
		.amdhsa_exception_fp_denorm_src 0
		.amdhsa_exception_fp_ieee_div_zero 0
		.amdhsa_exception_fp_ieee_overflow 0
		.amdhsa_exception_fp_ieee_underflow 0
		.amdhsa_exception_fp_ieee_inexact 0
		.amdhsa_exception_int_div_zero 0
	.end_amdhsa_kernel
	.text
.Lfunc_end1:
	.size	_Z17AIDW_Kernel_TiledPKfS0_S0_iS0_S0_PfifS0_, .Lfunc_end1-_Z17AIDW_Kernel_TiledPKfS0_S0_iS0_S0_PfifS0_
                                        ; -- End function
	.set _Z17AIDW_Kernel_TiledPKfS0_S0_iS0_S0_PfifS0_.num_vgpr, 27
	.set _Z17AIDW_Kernel_TiledPKfS0_S0_iS0_S0_PfifS0_.num_agpr, 0
	.set _Z17AIDW_Kernel_TiledPKfS0_S0_iS0_S0_PfifS0_.numbered_sgpr, 26
	.set _Z17AIDW_Kernel_TiledPKfS0_S0_iS0_S0_PfifS0_.num_named_barrier, 0
	.set _Z17AIDW_Kernel_TiledPKfS0_S0_iS0_S0_PfifS0_.private_seg_size, 0
	.set _Z17AIDW_Kernel_TiledPKfS0_S0_iS0_S0_PfifS0_.uses_vcc, 1
	.set _Z17AIDW_Kernel_TiledPKfS0_S0_iS0_S0_PfifS0_.uses_flat_scratch, 0
	.set _Z17AIDW_Kernel_TiledPKfS0_S0_iS0_S0_PfifS0_.has_dyn_sized_stack, 0
	.set _Z17AIDW_Kernel_TiledPKfS0_S0_iS0_S0_PfifS0_.has_recursion, 0
	.set _Z17AIDW_Kernel_TiledPKfS0_S0_iS0_S0_PfifS0_.has_indirect_call, 0
	.section	.AMDGPU.csdata,"",@progbits
; Kernel info:
; codeLenInByte = 3100
; TotalNumSgprs: 30
; NumVgprs: 27
; ScratchSize: 0
; MemoryBound: 0
; FloatMode: 240
; IeeeMode: 1
; LDSByteSize: 3072 bytes/workgroup (compile time only)
; SGPRBlocks: 8
; VGPRBlocks: 7
; NumSGPRsForWavesPerEU: 65
; NumVGPRsForWavesPerEU: 29
; Occupancy: 8
; WaveLimiterHint : 0
; COMPUTE_PGM_RSRC2:SCRATCH_EN: 0
; COMPUTE_PGM_RSRC2:USER_SGPR: 6
; COMPUTE_PGM_RSRC2:TRAP_HANDLER: 0
; COMPUTE_PGM_RSRC2:TGID_X_EN: 1
; COMPUTE_PGM_RSRC2:TGID_Y_EN: 0
; COMPUTE_PGM_RSRC2:TGID_Z_EN: 0
; COMPUTE_PGM_RSRC2:TIDIG_COMP_CNT: 0
	.section	.AMDGPU.gpr_maximums,"",@progbits
	.set amdgpu.max_num_vgpr, 0
	.set amdgpu.max_num_agpr, 0
	.set amdgpu.max_num_sgpr, 0
	.section	.AMDGPU.csdata,"",@progbits
	.type	__hip_cuid_d371b24502aa5c87,@object ; @__hip_cuid_d371b24502aa5c87
	.section	.bss,"aw",@nobits
	.globl	__hip_cuid_d371b24502aa5c87
__hip_cuid_d371b24502aa5c87:
	.byte	0                               ; 0x0
	.size	__hip_cuid_d371b24502aa5c87, 1

	.ident	"AMD clang version 22.0.0git (https://github.com/RadeonOpenCompute/llvm-project roc-7.2.4 26084 f58b06dce1f9c15707c5f808fd002e18c2accf7e)"
	.section	".note.GNU-stack","",@progbits
	.addrsig
	.addrsig_sym __hip_cuid_d371b24502aa5c87
	.amdgpu_metadata
---
amdhsa.kernels:
  - .args:
      - .actual_access:  read_only
        .address_space:  global
        .offset:         0
        .size:           8
        .value_kind:     global_buffer
      - .actual_access:  read_only
        .address_space:  global
        .offset:         8
        .size:           8
        .value_kind:     global_buffer
      - .actual_access:  read_only
        .address_space:  global
        .offset:         16
        .size:           8
        .value_kind:     global_buffer
      - .offset:         24
        .size:           4
        .value_kind:     by_value
      - .actual_access:  read_only
        .address_space:  global
        .offset:         32
        .size:           8
        .value_kind:     global_buffer
      - .actual_access:  read_only
        .address_space:  global
        .offset:         40
        .size:           8
        .value_kind:     global_buffer
      - .actual_access:  write_only
        .address_space:  global
        .offset:         48
        .size:           8
        .value_kind:     global_buffer
      - .offset:         56
        .size:           4
        .value_kind:     by_value
      - .offset:         60
        .size:           4
        .value_kind:     by_value
      - .actual_access:  read_only
        .address_space:  global
        .offset:         64
        .size:           8
        .value_kind:     global_buffer
      - .offset:         72
        .size:           4
        .value_kind:     hidden_block_count_x
      - .offset:         76
        .size:           4
        .value_kind:     hidden_block_count_y
      - .offset:         80
        .size:           4
        .value_kind:     hidden_block_count_z
      - .offset:         84
        .size:           2
        .value_kind:     hidden_group_size_x
      - .offset:         86
        .size:           2
        .value_kind:     hidden_group_size_y
      - .offset:         88
        .size:           2
        .value_kind:     hidden_group_size_z
      - .offset:         90
        .size:           2
        .value_kind:     hidden_remainder_x
      - .offset:         92
        .size:           2
        .value_kind:     hidden_remainder_y
      - .offset:         94
        .size:           2
        .value_kind:     hidden_remainder_z
      - .offset:         112
        .size:           8
        .value_kind:     hidden_global_offset_x
      - .offset:         120
        .size:           8
        .value_kind:     hidden_global_offset_y
      - .offset:         128
        .size:           8
        .value_kind:     hidden_global_offset_z
      - .offset:         136
        .size:           2
        .value_kind:     hidden_grid_dims
    .group_segment_fixed_size: 0
    .kernarg_segment_align: 8
    .kernarg_segment_size: 328
    .language:       OpenCL C
    .language_version:
      - 2
      - 0
    .max_flat_workgroup_size: 1024
    .name:           _Z11AIDW_KernelPKfS0_S0_iS0_S0_PfifS0_
    .private_segment_fixed_size: 0
    .sgpr_count:     28
    .sgpr_spill_count: 0
    .symbol:         _Z11AIDW_KernelPKfS0_S0_iS0_S0_PfifS0_.kd
    .uniform_work_group_size: 1
    .uses_dynamic_stack: false
    .vgpr_count:     21
    .vgpr_spill_count: 0
    .wavefront_size: 64
  - .args:
      - .actual_access:  read_only
        .address_space:  global
        .offset:         0
        .size:           8
        .value_kind:     global_buffer
      - .actual_access:  read_only
        .address_space:  global
        .offset:         8
        .size:           8
        .value_kind:     global_buffer
      - .actual_access:  read_only
        .address_space:  global
        .offset:         16
        .size:           8
        .value_kind:     global_buffer
      - .offset:         24
        .size:           4
        .value_kind:     by_value
      - .actual_access:  read_only
        .address_space:  global
        .offset:         32
        .size:           8
        .value_kind:     global_buffer
      - .actual_access:  read_only
        .address_space:  global
        .offset:         40
        .size:           8
        .value_kind:     global_buffer
      - .actual_access:  write_only
        .address_space:  global
        .offset:         48
        .size:           8
        .value_kind:     global_buffer
      - .offset:         56
        .size:           4
        .value_kind:     by_value
      - .offset:         60
        .size:           4
        .value_kind:     by_value
      - .actual_access:  read_only
        .address_space:  global
        .offset:         64
        .size:           8
        .value_kind:     global_buffer
      - .offset:         72
        .size:           4
        .value_kind:     hidden_block_count_x
      - .offset:         76
        .size:           4
        .value_kind:     hidden_block_count_y
      - .offset:         80
        .size:           4
        .value_kind:     hidden_block_count_z
      - .offset:         84
        .size:           2
        .value_kind:     hidden_group_size_x
      - .offset:         86
        .size:           2
        .value_kind:     hidden_group_size_y
      - .offset:         88
        .size:           2
        .value_kind:     hidden_group_size_z
      - .offset:         90
        .size:           2
        .value_kind:     hidden_remainder_x
      - .offset:         92
        .size:           2
        .value_kind:     hidden_remainder_y
      - .offset:         94
        .size:           2
        .value_kind:     hidden_remainder_z
      - .offset:         112
        .size:           8
        .value_kind:     hidden_global_offset_x
      - .offset:         120
        .size:           8
        .value_kind:     hidden_global_offset_y
      - .offset:         128
        .size:           8
        .value_kind:     hidden_global_offset_z
      - .offset:         136
        .size:           2
        .value_kind:     hidden_grid_dims
    .group_segment_fixed_size: 3072
    .kernarg_segment_align: 8
    .kernarg_segment_size: 328
    .language:       OpenCL C
    .language_version:
      - 2
      - 0
    .max_flat_workgroup_size: 1024
    .name:           _Z17AIDW_Kernel_TiledPKfS0_S0_iS0_S0_PfifS0_
    .private_segment_fixed_size: 0
    .sgpr_count:     30
    .sgpr_spill_count: 0
    .symbol:         _Z17AIDW_Kernel_TiledPKfS0_S0_iS0_S0_PfifS0_.kd
    .uniform_work_group_size: 1
    .uses_dynamic_stack: false
    .vgpr_count:     27
    .vgpr_spill_count: 0
    .wavefront_size: 64
amdhsa.target:   amdgcn-amd-amdhsa--gfx906
amdhsa.version:
  - 1
  - 2
...

	.end_amdgpu_metadata
